;; amdgpu-corpus repo=ROCm/rocFFT kind=compiled arch=gfx1100 opt=O3
	.text
	.amdgcn_target "amdgcn-amd-amdhsa--gfx1100"
	.amdhsa_code_object_version 6
	.protected	fft_rtc_back_len60_factors_6_10_wgs_160_tpt_10_dp_op_CI_CI_sbcc_twdbase8_3step_dirReg_intrinsicRead ; -- Begin function fft_rtc_back_len60_factors_6_10_wgs_160_tpt_10_dp_op_CI_CI_sbcc_twdbase8_3step_dirReg_intrinsicRead
	.globl	fft_rtc_back_len60_factors_6_10_wgs_160_tpt_10_dp_op_CI_CI_sbcc_twdbase8_3step_dirReg_intrinsicRead
	.p2align	8
	.type	fft_rtc_back_len60_factors_6_10_wgs_160_tpt_10_dp_op_CI_CI_sbcc_twdbase8_3step_dirReg_intrinsicRead,@function
fft_rtc_back_len60_factors_6_10_wgs_160_tpt_10_dp_op_CI_CI_sbcc_twdbase8_3step_dirReg_intrinsicRead: ; @fft_rtc_back_len60_factors_6_10_wgs_160_tpt_10_dp_op_CI_CI_sbcc_twdbase8_3step_dirReg_intrinsicRead
; %bb.0:
	s_clause 0x1
	s_load_b128 s[20:23], s[0:1], 0x18
	s_load_b64 s[28:29], s[0:1], 0x28
	s_mov_b32 s30, s15
	s_mov_b32 s31, 0
	s_waitcnt lgkmcnt(0)
	s_load_b64 s[26:27], s[20:21], 0x8
	s_waitcnt lgkmcnt(0)
	s_add_u32 s2, s26, -1
	s_addc_u32 s3, s27, -1
	s_delay_alu instid0(SALU_CYCLE_1) | instskip(NEXT) | instid1(SALU_CYCLE_1)
	s_lshr_b64 s[2:3], s[2:3], 4
	s_add_u32 s34, s2, 1
	s_addc_u32 s35, s3, 0
	s_delay_alu instid0(SALU_CYCLE_1) | instskip(NEXT) | instid1(VALU_DEP_1)
	v_cmp_lt_u64_e64 s2, s[30:31], s[34:35]
	s_and_b32 vcc_lo, exec_lo, s2
	s_mov_b64 s[2:3], 0
	s_cbranch_vccnz .LBB0_2
; %bb.1:
	v_cvt_f32_u32_e32 v1, s34
	s_sub_i32 s3, 0, s34
	s_delay_alu instid0(VALU_DEP_1) | instskip(SKIP_2) | instid1(VALU_DEP_1)
	v_rcp_iflag_f32_e32 v1, v1
	s_waitcnt_depctr 0xfff
	v_mul_f32_e32 v1, 0x4f7ffffe, v1
	v_cvt_u32_f32_e32 v1, v1
	s_delay_alu instid0(VALU_DEP_1) | instskip(NEXT) | instid1(VALU_DEP_1)
	v_readfirstlane_b32 s2, v1
	s_mul_i32 s3, s3, s2
	s_delay_alu instid0(SALU_CYCLE_1) | instskip(NEXT) | instid1(SALU_CYCLE_1)
	s_mul_hi_u32 s3, s2, s3
	s_add_i32 s2, s2, s3
	s_delay_alu instid0(SALU_CYCLE_1) | instskip(NEXT) | instid1(SALU_CYCLE_1)
	s_mul_hi_u32 s2, s30, s2
	s_mul_i32 s3, s2, s34
	s_add_i32 s4, s2, 1
	s_sub_i32 s3, s30, s3
	s_delay_alu instid0(SALU_CYCLE_1)
	s_sub_i32 s5, s3, s34
	s_cmp_ge_u32 s3, s34
	s_cselect_b32 s2, s4, s2
	s_cselect_b32 s3, s5, s3
	s_add_i32 s4, s2, 1
	s_cmp_ge_u32 s3, s34
	s_mov_b32 s3, s31
	s_cselect_b32 s2, s4, s2
.LBB0_2:
	s_load_b128 s[16:19], s[22:23], 0x0
	s_load_b128 s[4:7], s[28:29], 0x0
	;; [unrolled: 1-line block ×3, first 2 shown]
	s_mul_i32 s8, s2, s35
	s_mul_hi_u32 s9, s2, s34
	s_mul_i32 s10, s2, s34
	s_add_i32 s9, s9, s8
	s_sub_u32 s36, s30, s10
	s_subb_u32 s37, 0, s9
	s_clause 0x1
	s_load_b64 s[24:25], s[0:1], 0x0
	s_load_b128 s[8:11], s[0:1], 0x60
	v_alignbit_b32 v1, s37, s36, 28
	s_lshl_b64 s[0:1], s[36:37], 4
	s_waitcnt lgkmcnt(0)
	s_delay_alu instid0(VALU_DEP_1)
	v_mul_lo_u32 v2, s18, v1
	v_mul_lo_u32 v1, s6, v1
	s_mul_hi_u32 s17, s18, s0
	s_mul_hi_u32 s37, s6, s0
	s_mul_i32 s36, s18, s0
	v_cmp_lt_u64_e64 s39, s[14:15], 3
	s_mul_i32 s33, s19, s0
	s_mul_i32 s38, s7, s0
	v_add_nc_u32_e32 v2, s17, v2
	v_add_nc_u32_e32 v3, s37, v1
	v_mov_b32_e32 v1, s36
	s_mul_i32 s17, s6, s0
	s_and_b32 vcc_lo, exec_lo, s39
	v_dual_mov_b32 v85, s17 :: v_dual_add_nc_u32 v2, s33, v2
	v_add_nc_u32_e32 v86, s38, v3
	s_cbranch_vccnz .LBB0_11
; %bb.3:
	s_add_u32 s36, s28, 16
	s_addc_u32 s37, s29, 0
	s_add_u32 s38, s22, 16
	s_addc_u32 s39, s23, 0
	;; [unrolled: 2-line block ×3, first 2 shown]
	s_mov_b64 s[40:41], 2
	s_mov_b32 s42, 0
	s_branch .LBB0_5
.LBB0_4:                                ;   in Loop: Header=BB0_5 Depth=1
	s_load_b64 s[48:49], s[38:39], 0x0
	s_load_b64 s[50:51], s[36:37], 0x0
	s_mul_i32 s17, s44, s35
	s_mul_hi_u32 s33, s44, s34
	s_mul_i32 s35, s45, s34
	s_mul_i32 s43, s46, s45
	s_mul_hi_u32 s45, s46, s44
	s_mul_i32 s52, s47, s44
	s_add_i32 s17, s33, s17
	s_add_i32 s33, s45, s43
	s_mul_i32 s53, s46, s44
	s_add_i32 s35, s17, s35
	s_add_i32 s33, s33, s52
	s_sub_u32 s2, s2, s53
	s_subb_u32 s3, s3, s33
	s_mul_i32 s34, s44, s34
	s_waitcnt lgkmcnt(0)
	s_mul_i32 s17, s48, s3
	s_mul_hi_u32 s33, s48, s2
	s_mul_i32 s3, s50, s3
	s_mul_hi_u32 s45, s50, s2
	s_mul_i32 s43, s49, s2
	s_add_i32 s17, s33, s17
	s_add_i32 s3, s45, s3
	s_mul_i32 s33, s51, s2
	s_mul_i32 s44, s48, s2
	s_add_i32 s17, s17, s43
	s_add_i32 s3, s3, s33
	v_add_co_u32 v1, vcc_lo, s44, v1
	s_add_u32 s40, s40, 1
	s_mul_i32 s2, s50, s2
	s_addc_u32 s41, s41, 0
	v_add_co_ci_u32_e32 v2, vcc_lo, s17, v2, vcc_lo
	v_add_co_u32 v85, vcc_lo, s2, v85
	v_cmp_ge_u64_e64 s2, s[40:41], s[14:15]
	s_add_u32 s36, s36, 8
	s_addc_u32 s37, s37, 0
	v_add_co_ci_u32_e32 v86, vcc_lo, s3, v86, vcc_lo
	s_add_u32 s38, s38, 8
	s_addc_u32 s39, s39, 0
	s_add_u32 s20, s20, 8
	s_addc_u32 s21, s21, 0
	s_and_b32 vcc_lo, exec_lo, s2
	s_mov_b64 s[2:3], s[46:47]
	s_cbranch_vccnz .LBB0_9
.LBB0_5:                                ; =>This Inner Loop Header: Depth=1
	s_load_b64 s[44:45], s[20:21], 0x0
	s_mov_b32 s17, -1
	s_waitcnt lgkmcnt(0)
	s_or_b64 s[46:47], s[2:3], s[44:45]
	s_delay_alu instid0(SALU_CYCLE_1) | instskip(NEXT) | instid1(SALU_CYCLE_1)
	s_mov_b32 s43, s47
                                        ; implicit-def: $sgpr46_sgpr47
	s_cmp_lg_u64 s[42:43], 0
	s_cbranch_scc0 .LBB0_7
; %bb.6:                                ;   in Loop: Header=BB0_5 Depth=1
	v_cvt_f32_u32_e32 v3, s44
	v_cvt_f32_u32_e32 v4, s45
	s_sub_u32 s43, 0, s44
	s_subb_u32 s46, 0, s45
	s_delay_alu instid0(VALU_DEP_1) | instskip(NEXT) | instid1(VALU_DEP_1)
	v_fmac_f32_e32 v3, 0x4f800000, v4
	v_rcp_f32_e32 v3, v3
	s_waitcnt_depctr 0xfff
	v_mul_f32_e32 v3, 0x5f7ffffc, v3
	s_delay_alu instid0(VALU_DEP_1) | instskip(NEXT) | instid1(VALU_DEP_1)
	v_mul_f32_e32 v4, 0x2f800000, v3
	v_trunc_f32_e32 v4, v4
	s_delay_alu instid0(VALU_DEP_1) | instskip(SKIP_1) | instid1(VALU_DEP_2)
	v_fmac_f32_e32 v3, 0xcf800000, v4
	v_cvt_u32_f32_e32 v4, v4
	v_cvt_u32_f32_e32 v3, v3
	s_delay_alu instid0(VALU_DEP_2) | instskip(NEXT) | instid1(VALU_DEP_2)
	v_readfirstlane_b32 s17, v4
	v_readfirstlane_b32 s33, v3
	s_delay_alu instid0(VALU_DEP_2) | instskip(NEXT) | instid1(VALU_DEP_1)
	s_mul_i32 s47, s43, s17
	s_mul_hi_u32 s49, s43, s33
	s_mul_i32 s48, s46, s33
	s_add_i32 s47, s49, s47
	s_mul_i32 s50, s43, s33
	s_add_i32 s47, s47, s48
	s_mul_hi_u32 s49, s33, s50
	s_mul_hi_u32 s51, s17, s50
	s_mul_i32 s48, s17, s50
	s_mul_hi_u32 s50, s33, s47
	s_mul_i32 s33, s33, s47
	s_mul_hi_u32 s52, s17, s47
	s_add_u32 s33, s49, s33
	s_addc_u32 s49, 0, s50
	s_add_u32 s33, s33, s48
	s_mul_i32 s47, s17, s47
	s_addc_u32 s33, s49, s51
	s_addc_u32 s48, s52, 0
	s_add_u32 s33, s33, s47
	s_addc_u32 s47, 0, s48
	v_add_co_u32 v3, s33, v3, s33
	s_delay_alu instid0(VALU_DEP_1) | instskip(SKIP_1) | instid1(VALU_DEP_1)
	s_cmp_lg_u32 s33, 0
	s_addc_u32 s17, s17, s47
	v_readfirstlane_b32 s33, v3
	s_mul_i32 s47, s43, s17
	s_delay_alu instid0(VALU_DEP_1)
	s_mul_hi_u32 s48, s43, s33
	s_mul_i32 s46, s46, s33
	s_add_i32 s47, s48, s47
	s_mul_i32 s43, s43, s33
	s_add_i32 s47, s47, s46
	s_mul_hi_u32 s48, s17, s43
	s_mul_i32 s49, s17, s43
	s_mul_hi_u32 s43, s33, s43
	s_mul_hi_u32 s50, s33, s47
	s_mul_i32 s33, s33, s47
	s_mul_hi_u32 s46, s17, s47
	s_add_u32 s33, s43, s33
	s_addc_u32 s43, 0, s50
	s_add_u32 s33, s33, s49
	s_mul_i32 s47, s17, s47
	s_addc_u32 s33, s43, s48
	s_addc_u32 s43, s46, 0
	s_add_u32 s33, s33, s47
	s_addc_u32 s43, 0, s43
	v_add_co_u32 v3, s33, v3, s33
	s_delay_alu instid0(VALU_DEP_1) | instskip(SKIP_1) | instid1(VALU_DEP_1)
	s_cmp_lg_u32 s33, 0
	s_addc_u32 s17, s17, s43
	v_readfirstlane_b32 s33, v3
	s_mul_i32 s46, s2, s17
	s_mul_hi_u32 s43, s2, s17
	s_mul_hi_u32 s47, s3, s17
	s_mul_i32 s17, s3, s17
	s_mul_hi_u32 s48, s2, s33
	s_mul_hi_u32 s49, s3, s33
	s_mul_i32 s33, s3, s33
	s_add_u32 s46, s48, s46
	s_addc_u32 s43, 0, s43
	s_add_u32 s33, s46, s33
	s_addc_u32 s33, s43, s49
	s_addc_u32 s43, s47, 0
	s_add_u32 s33, s33, s17
	s_addc_u32 s43, 0, s43
	s_mul_hi_u32 s17, s44, s33
	s_mul_i32 s47, s44, s43
	s_mul_i32 s48, s44, s33
	s_add_i32 s17, s17, s47
	v_sub_co_u32 v3, s47, s2, s48
	s_mul_i32 s46, s45, s33
	s_delay_alu instid0(SALU_CYCLE_1) | instskip(NEXT) | instid1(VALU_DEP_1)
	s_add_i32 s17, s17, s46
	v_sub_co_u32 v4, s48, v3, s44
	s_sub_i32 s46, s3, s17
	s_cmp_lg_u32 s47, 0
	s_subb_u32 s46, s46, s45
	s_cmp_lg_u32 s48, 0
	v_readfirstlane_b32 s48, v4
	s_subb_u32 s46, s46, 0
	s_delay_alu instid0(SALU_CYCLE_1) | instskip(SKIP_1) | instid1(VALU_DEP_1)
	s_cmp_ge_u32 s46, s45
	s_cselect_b32 s49, -1, 0
	s_cmp_ge_u32 s48, s44
	s_cselect_b32 s48, -1, 0
	s_cmp_eq_u32 s46, s45
	s_cselect_b32 s46, s48, s49
	s_add_u32 s48, s33, 1
	s_addc_u32 s49, s43, 0
	s_add_u32 s50, s33, 2
	s_addc_u32 s51, s43, 0
	s_cmp_lg_u32 s46, 0
	s_cselect_b32 s46, s50, s48
	s_cselect_b32 s48, s51, s49
	s_cmp_lg_u32 s47, 0
	v_readfirstlane_b32 s47, v3
	s_subb_u32 s17, s3, s17
	s_delay_alu instid0(SALU_CYCLE_1) | instskip(SKIP_1) | instid1(VALU_DEP_1)
	s_cmp_ge_u32 s17, s45
	s_cselect_b32 s49, -1, 0
	s_cmp_ge_u32 s47, s44
	s_cselect_b32 s47, -1, 0
	s_cmp_eq_u32 s17, s45
	s_cselect_b32 s17, s47, s49
	s_delay_alu instid0(SALU_CYCLE_1)
	s_cmp_lg_u32 s17, 0
	s_mov_b32 s17, 0
	s_cselect_b32 s47, s48, s43
	s_cselect_b32 s46, s46, s33
.LBB0_7:                                ;   in Loop: Header=BB0_5 Depth=1
	s_and_not1_b32 vcc_lo, exec_lo, s17
	s_cbranch_vccnz .LBB0_4
; %bb.8:                                ;   in Loop: Header=BB0_5 Depth=1
	v_cvt_f32_u32_e32 v3, s44
	s_sub_i32 s33, 0, s44
	s_mov_b32 s47, s42
	s_delay_alu instid0(VALU_DEP_1) | instskip(SKIP_2) | instid1(VALU_DEP_1)
	v_rcp_iflag_f32_e32 v3, v3
	s_waitcnt_depctr 0xfff
	v_mul_f32_e32 v3, 0x4f7ffffe, v3
	v_cvt_u32_f32_e32 v3, v3
	s_delay_alu instid0(VALU_DEP_1) | instskip(NEXT) | instid1(VALU_DEP_1)
	v_readfirstlane_b32 s17, v3
	s_mul_i32 s33, s33, s17
	s_delay_alu instid0(SALU_CYCLE_1) | instskip(NEXT) | instid1(SALU_CYCLE_1)
	s_mul_hi_u32 s33, s17, s33
	s_add_i32 s17, s17, s33
	s_delay_alu instid0(SALU_CYCLE_1) | instskip(NEXT) | instid1(SALU_CYCLE_1)
	s_mul_hi_u32 s17, s2, s17
	s_mul_i32 s33, s17, s44
	s_add_i32 s43, s17, 1
	s_sub_i32 s33, s2, s33
	s_delay_alu instid0(SALU_CYCLE_1)
	s_sub_i32 s46, s33, s44
	s_cmp_ge_u32 s33, s44
	s_cselect_b32 s17, s43, s17
	s_cselect_b32 s33, s46, s33
	s_add_i32 s43, s17, 1
	s_cmp_ge_u32 s33, s44
	s_cselect_b32 s46, s43, s17
	s_branch .LBB0_4
.LBB0_9:
	v_cmp_lt_u64_e64 s2, s[30:31], s[34:35]
	s_delay_alu instid0(VALU_DEP_1)
	s_and_b32 vcc_lo, exec_lo, s2
	s_mov_b64 s[2:3], 0
	s_cbranch_vccnz .LBB0_11
; %bb.10:
	v_cvt_f32_u32_e32 v2, s34
	s_sub_i32 s3, 0, s34
	s_delay_alu instid0(VALU_DEP_1) | instskip(SKIP_2) | instid1(VALU_DEP_1)
	v_rcp_iflag_f32_e32 v2, v2
	s_waitcnt_depctr 0xfff
	v_mul_f32_e32 v2, 0x4f7ffffe, v2
	v_cvt_u32_f32_e32 v2, v2
	s_delay_alu instid0(VALU_DEP_1) | instskip(NEXT) | instid1(VALU_DEP_1)
	v_readfirstlane_b32 s2, v2
	s_mul_i32 s3, s3, s2
	s_delay_alu instid0(SALU_CYCLE_1) | instskip(NEXT) | instid1(SALU_CYCLE_1)
	s_mul_hi_u32 s3, s2, s3
	s_add_i32 s2, s2, s3
	s_delay_alu instid0(SALU_CYCLE_1) | instskip(NEXT) | instid1(SALU_CYCLE_1)
	s_mul_hi_u32 s2, s30, s2
	s_mul_i32 s3, s2, s34
	s_add_i32 s17, s2, 1
	s_sub_i32 s3, s30, s3
	s_delay_alu instid0(SALU_CYCLE_1)
	s_sub_i32 s20, s3, s34
	s_cmp_ge_u32 s3, s34
	s_cselect_b32 s2, s17, s2
	s_cselect_b32 s3, s20, s3
	s_add_i32 s17, s2, 1
	s_cmp_ge_u32 s3, s34
	s_cselect_b32 s2, s17, s2
.LBB0_11:
	s_lshl_b64 s[14:15], s[14:15], 3
	v_dual_mov_b32 v3, 0 :: v_dual_and_b32 v88, 15, v0
	s_add_u32 s20, s22, s14
	s_addc_u32 s21, s23, s15
	v_mov_b32_e32 v4, 0
	s_load_b64 s[20:21], s[20:21], 0x0
	v_mad_u64_u32 v[25:26], null, s18, v88, 0
	v_mov_b32_e32 v84, s1
	s_add_u32 s14, s28, s14
	v_or_b32_e32 v83, s0, v88
	s_addc_u32 s15, s29, s15
	s_add_u32 s0, s0, 16
	s_addc_u32 s1, s1, 0
	s_delay_alu instid0(VALU_DEP_3) | instskip(SKIP_3) | instid1(VALU_DEP_4)
	v_mov_b32_e32 v2, v26
	v_dual_mov_b32 v8, v4 :: v_dual_mov_b32 v7, v3
	v_cmp_le_u64_e64 s3, s[0:1], s[26:27]
	v_cmp_gt_u64_e32 vcc_lo, s[26:27], v[83:84]
	v_mad_u64_u32 v[5:6], null, s19, v88, v[2:3]
	v_dual_mov_b32 v6, v4 :: v_dual_mov_b32 v5, v3
	v_lshrrev_b32_e32 v87, 4, v0
	s_or_b32 s1, s3, vcc_lo
	s_waitcnt lgkmcnt(0)
	s_mul_i32 s0, s20, s2
	s_delay_alu instid0(SALU_CYCLE_1)
	v_add_co_u32 v26, null, s0, v1
	s_and_saveexec_b32 s17, s1
	s_cbranch_execz .LBB0_13
; %bb.12:
	v_mul_lo_u32 v1, s16, v87
	v_mov_b32_e32 v2, 0
	s_delay_alu instid0(VALU_DEP_2) | instskip(NEXT) | instid1(VALU_DEP_1)
	v_add3_u32 v1, v26, v25, v1
	v_lshlrev_b64 v[1:2], 4, v[1:2]
	s_delay_alu instid0(VALU_DEP_1) | instskip(NEXT) | instid1(VALU_DEP_1)
	v_add_co_u32 v1, s0, s8, v1
	v_add_co_ci_u32_e64 v2, s0, s9, v2, s0
	global_load_b128 v[5:8], v[1:2], off
.LBB0_13:
	s_or_b32 exec_lo, exec_lo, s17
	v_dual_mov_b32 v1, v3 :: v_dual_mov_b32 v2, v4
	s_and_saveexec_b32 s17, s1
	s_cbranch_execz .LBB0_15
; %bb.14:
	v_dual_mov_b32 v2, 0 :: v_dual_add_nc_u32 v1, 10, v87
	s_delay_alu instid0(VALU_DEP_1) | instskip(NEXT) | instid1(VALU_DEP_1)
	v_mul_lo_u32 v1, s16, v1
	v_add3_u32 v1, v26, v25, v1
	s_delay_alu instid0(VALU_DEP_1) | instskip(NEXT) | instid1(VALU_DEP_1)
	v_lshlrev_b64 v[1:2], 4, v[1:2]
	v_add_co_u32 v1, s0, s8, v1
	s_delay_alu instid0(VALU_DEP_1)
	v_add_co_ci_u32_e64 v2, s0, s9, v2, s0
	global_load_b128 v[1:4], v[1:2], off
.LBB0_15:
	s_or_b32 exec_lo, exec_lo, s17
	v_mov_b32_e32 v11, 0
	v_mov_b32_e32 v12, 0
	s_delay_alu instid0(VALU_DEP_1)
	v_dual_mov_b32 v16, v12 :: v_dual_mov_b32 v15, v11
	v_dual_mov_b32 v14, v12 :: v_dual_mov_b32 v13, v11
	s_and_saveexec_b32 s17, s1
	s_cbranch_execz .LBB0_17
; %bb.16:
	v_dual_mov_b32 v10, 0 :: v_dual_add_nc_u32 v9, 20, v87
	s_delay_alu instid0(VALU_DEP_1) | instskip(NEXT) | instid1(VALU_DEP_1)
	v_mul_lo_u32 v9, s16, v9
	v_add3_u32 v9, v26, v25, v9
	s_delay_alu instid0(VALU_DEP_1) | instskip(NEXT) | instid1(VALU_DEP_1)
	v_lshlrev_b64 v[9:10], 4, v[9:10]
	v_add_co_u32 v9, s0, s8, v9
	s_delay_alu instid0(VALU_DEP_1)
	v_add_co_ci_u32_e64 v10, s0, s9, v10, s0
	global_load_b128 v[13:16], v[9:10], off
.LBB0_17:
	s_or_b32 exec_lo, exec_lo, s17
	v_dual_mov_b32 v9, v11 :: v_dual_add_nc_u32 v84, 30, v87
	v_mov_b32_e32 v18, 0
	v_mov_b32_e32 v10, v12
	s_and_saveexec_b32 s17, s1
	s_cbranch_execz .LBB0_19
; %bb.18:
	v_mul_lo_u32 v9, s16, v84
	s_delay_alu instid0(VALU_DEP_1) | instskip(NEXT) | instid1(VALU_DEP_1)
	v_add3_u32 v17, v26, v25, v9
	v_lshlrev_b64 v[9:10], 4, v[17:18]
	s_delay_alu instid0(VALU_DEP_1) | instskip(NEXT) | instid1(VALU_DEP_1)
	v_add_co_u32 v9, s0, s8, v9
	v_add_co_ci_u32_e64 v10, s0, s9, v10, s0
	global_load_b128 v[9:12], v[9:10], off
.LBB0_19:
	s_or_b32 exec_lo, exec_lo, s17
	v_mov_b32_e32 v19, 0
	v_mov_b32_e32 v20, 0
	s_delay_alu instid0(VALU_DEP_1)
	v_dual_mov_b32 v24, v20 :: v_dual_mov_b32 v23, v19
	v_dual_mov_b32 v22, v20 :: v_dual_mov_b32 v21, v19
	s_and_saveexec_b32 s17, s1
	s_cbranch_execz .LBB0_21
; %bb.20:
	v_dual_mov_b32 v18, 0 :: v_dual_add_nc_u32 v17, 40, v87
	s_delay_alu instid0(VALU_DEP_1) | instskip(NEXT) | instid1(VALU_DEP_1)
	v_mul_lo_u32 v17, s16, v17
	v_add3_u32 v17, v26, v25, v17
	s_delay_alu instid0(VALU_DEP_1) | instskip(NEXT) | instid1(VALU_DEP_1)
	v_lshlrev_b64 v[17:18], 4, v[17:18]
	v_add_co_u32 v17, s0, s8, v17
	s_delay_alu instid0(VALU_DEP_1)
	v_add_co_ci_u32_e64 v18, s0, s9, v18, s0
	global_load_b128 v[21:24], v[17:18], off
.LBB0_21:
	s_or_b32 exec_lo, exec_lo, s17
	s_load_b64 s[14:15], s[14:15], 0x0
	v_dual_mov_b32 v17, v19 :: v_dual_mov_b32 v18, v20
	s_and_saveexec_b32 s17, s1
	s_cbranch_execz .LBB0_23
; %bb.22:
	v_dual_mov_b32 v18, 0 :: v_dual_add_nc_u32 v17, 50, v87
	s_delay_alu instid0(VALU_DEP_1) | instskip(NEXT) | instid1(VALU_DEP_1)
	v_mul_lo_u32 v17, s16, v17
	v_add3_u32 v17, v26, v25, v17
	s_delay_alu instid0(VALU_DEP_1) | instskip(NEXT) | instid1(VALU_DEP_1)
	v_lshlrev_b64 v[17:18], 4, v[17:18]
	v_add_co_u32 v17, s0, s8, v17
	s_delay_alu instid0(VALU_DEP_1)
	v_add_co_ci_u32_e64 v18, s0, s9, v18, s0
	global_load_b128 v[17:20], v[17:18], off
.LBB0_23:
	s_or_b32 exec_lo, exec_lo, s17
	s_waitcnt vmcnt(0)
	v_add_f64 v[25:26], v[11:12], v[19:20]
	v_add_f64 v[27:28], v[9:10], v[17:18]
	v_add_f64 v[29:30], v[9:10], -v[17:18]
	v_add_f64 v[31:32], v[11:12], -v[19:20]
	s_mov_b32 s0, 0xe8584caa
	s_mov_b32 s1, 0xbfebb67a
	;; [unrolled: 1-line block ×4, first 2 shown]
	v_add_f64 v[33:34], v[13:14], v[21:22]
	v_add_f64 v[35:36], v[15:16], v[23:24]
	;; [unrolled: 1-line block ×3, first 2 shown]
	v_add_f64 v[41:42], v[15:16], -v[23:24]
	v_add_f64 v[15:16], v[7:8], v[15:16]
	v_fma_f64 v[25:26], v[25:26], -0.5, v[3:4]
	v_fma_f64 v[27:28], v[27:28], -0.5, v[1:2]
	v_add_f64 v[1:2], v[1:2], v[9:10]
	v_add_f64 v[3:4], v[3:4], v[11:12]
	v_add_f64 v[9:10], v[13:14], -v[21:22]
	v_fma_f64 v[5:6], v[33:34], -0.5, v[5:6]
	v_fma_f64 v[7:8], v[35:36], -0.5, v[7:8]
	v_add_f64 v[21:22], v[39:40], v[21:22]
	v_add_f64 v[15:16], v[15:16], v[23:24]
	v_fma_f64 v[37:38], v[29:30], s[8:9], v[25:26]
	v_fma_f64 v[25:26], v[29:30], s[0:1], v[25:26]
	;; [unrolled: 1-line block ×4, first 2 shown]
	v_add_f64 v[17:18], v[1:2], v[17:18]
	v_add_f64 v[19:20], v[3:4], v[19:20]
	v_fma_f64 v[23:24], v[41:42], s[0:1], v[5:6]
	v_fma_f64 v[5:6], v[41:42], s[8:9], v[5:6]
	;; [unrolled: 1-line block ×4, first 2 shown]
	v_mul_f64 v[13:14], v[37:38], s[0:1]
	v_mul_f64 v[27:28], v[25:26], s[0:1]
	;; [unrolled: 1-line block ×3, first 2 shown]
	v_mul_f64 v[25:26], v[25:26], -0.5
	v_add_f64 v[1:2], v[21:22], v[17:18]
	v_add_f64 v[3:4], v[15:16], v[19:20]
	v_add_f64 v[9:10], v[21:22], -v[17:18]
	v_cmp_gt_u32_e64 s0, 0x60, v0
	v_fma_f64 v[13:14], v[29:30], 0.5, v[13:14]
	v_fma_f64 v[27:28], v[11:12], -0.5, v[27:28]
	v_fma_f64 v[29:30], v[37:38], 0.5, v[31:32]
	v_fma_f64 v[25:26], v[11:12], s[8:9], v[25:26]
	v_add_f64 v[11:12], v[15:16], -v[19:20]
                                        ; implicit-def: $vgpr31_vgpr32
	v_add_f64 v[37:38], v[23:24], v[13:14]
	v_add_f64 v[33:34], v[5:6], v[27:28]
	;; [unrolled: 1-line block ×4, first 2 shown]
	v_add_f64 v[13:14], v[23:24], -v[13:14]
	v_add_f64 v[17:18], v[5:6], -v[27:28]
	;; [unrolled: 1-line block ×4, first 2 shown]
	v_mul_u32_u24_e32 v6, 0x60, v87
	v_lshlrev_b32_e32 v5, 4, v88
                                        ; implicit-def: $vgpr7_vgpr8
                                        ; implicit-def: $vgpr27_vgpr28
                                        ; implicit-def: $vgpr23_vgpr24
	s_delay_alu instid0(VALU_DEP_2) | instskip(NEXT) | instid1(VALU_DEP_1)
	v_lshlrev_b32_e32 v6, 4, v6
	v_add3_u32 v6, 0, v6, v5
	ds_store_b128 v6, v[1:4]
	ds_store_b128 v6, v[37:40] offset:256
	ds_store_b128 v6, v[33:36] offset:512
	;; [unrolled: 1-line block ×5, first 2 shown]
	s_waitcnt lgkmcnt(0)
	s_barrier
	buffer_gl0_inv
	s_and_saveexec_b32 s1, s0
	s_cbranch_execz .LBB0_25
; %bb.24:
	v_and_b32_e32 v0, 0x70, v0
	s_delay_alu instid0(VALU_DEP_1) | instskip(NEXT) | instid1(VALU_DEP_1)
	v_lshlrev_b32_e32 v0, 4, v0
	v_add3_u32 v0, 0, v0, v5
	ds_load_b128 v[1:4], v0
	ds_load_b128 v[37:40], v0 offset:1536
	ds_load_b128 v[33:36], v0 offset:3072
	;; [unrolled: 1-line block ×9, first 2 shown]
.LBB0_25:
	s_or_b32 exec_lo, exec_lo, s1
	v_mul_lo_u16 v0, v87, 43
	s_movk_i32 s1, 0xff0
	s_movk_i32 s8, 0x2000
	s_mov_b32 s16, 0x134454ff
	s_mov_b32 s17, 0xbfee6f0e
	v_lshrrev_b16 v0, 8, v0
	s_mov_b32 s9, 0x3fee6f0e
	s_mov_b32 s18, 0x4755a5e
	;; [unrolled: 1-line block ×4, first 2 shown]
	v_mul_lo_u16 v0, v0, 6
	s_mov_b32 s21, 0x3fd3c6ef
	s_mov_b32 s22, 0x9b97f4a8
	;; [unrolled: 1-line block ×3, first 2 shown]
	s_delay_alu instid0(VALU_DEP_1) | instskip(NEXT) | instid1(VALU_DEP_1)
	v_sub_nc_u16 v0, v87, v0
	v_and_b32_e32 v0, 0xff, v0
	s_delay_alu instid0(VALU_DEP_1) | instskip(SKIP_3) | instid1(VALU_DEP_4)
	v_mul_u32_u24_e32 v41, 9, v0
	v_mul_lo_u32 v89, v83, v0
	v_add_nc_u32_e32 v77, 6, v0
	v_add_nc_u32_e32 v114, 18, v0
	v_lshlrev_b32_e32 v61, 4, v41
	s_clause 0x8
	global_load_b128 v[92:95], v61, s[24:25]
	global_load_b128 v[73:76], v61, s[24:25] offset:16
	global_load_b128 v[53:56], v61, s[24:25] offset:32
	global_load_b128 v[49:52], v61, s[24:25] offset:48
	global_load_b128 v[57:60], v61, s[24:25] offset:64
	global_load_b128 v[45:48], v61, s[24:25] offset:80
	global_load_b128 v[41:44], v61, s[24:25] offset:96
	global_load_b128 v[96:99], v61, s[24:25] offset:112
	global_load_b128 v[61:64], v61, s[24:25] offset:128
	v_and_b32_e32 v65, 0xff, v89
	v_lshrrev_b32_e32 v66, 4, v89
	v_mul_lo_u32 v90, v83, v77
	v_add_nc_u32_e32 v77, 12, v0
	s_mov_b32 s25, 0xbfd3c6ef
	v_lshlrev_b32_e32 v65, 4, v65
	v_and_or_b32 v69, v66, s1, 0x1000
	s_clause 0x1
	global_load_b128 v[65:68], v65, s[12:13]
	global_load_b128 v[69:72], v69, s[12:13]
	v_mul_lo_u32 v91, v83, v77
	s_mov_b32 s24, s20
	s_waitcnt vmcnt(10) lgkmcnt(8)
	v_mul_f64 v[100:101], v[39:40], v[94:95]
	v_mul_f64 v[94:95], v[37:38], v[94:95]
	s_waitcnt vmcnt(9) lgkmcnt(7)
	v_mul_f64 v[102:103], v[35:36], v[75:76]
	v_mul_f64 v[104:105], v[33:34], v[75:76]
	v_and_b32_e32 v75, 0xff, v90
	s_waitcnt vmcnt(8) lgkmcnt(6)
	v_mul_f64 v[106:107], v[11:12], v[55:56]
	v_mul_f64 v[108:109], v[9:10], v[55:56]
	v_lshrrev_b32_e32 v76, 4, v90
	s_waitcnt vmcnt(7) lgkmcnt(5)
	v_mul_f64 v[110:111], v[15:16], v[51:52]
	v_lshlrev_b32_e32 v55, 4, v75
	v_mul_f64 v[112:113], v[13:14], v[51:52]
	s_waitcnt vmcnt(6) lgkmcnt(4)
	v_mul_f64 v[120:121], v[19:20], v[59:60]
	v_and_or_b32 v56, v76, s1, 0x1000
	s_clause 0x1
	global_load_b128 v[75:78], v55, s[12:13]
	global_load_b128 v[79:82], v56, s[12:13]
	v_mul_f64 v[59:60], v[17:18], v[59:60]
	v_fma_f64 v[55:56], v[37:38], v[92:93], v[100:101]
	v_fma_f64 v[37:38], v[39:40], v[92:93], -v[94:95]
	v_and_b32_e32 v39, 0xff, v91
	v_lshrrev_b32_e32 v40, 4, v91
	s_delay_alu instid0(VALU_DEP_2) | instskip(NEXT) | instid1(VALU_DEP_2)
	v_lshlrev_b32_e32 v51, 4, v39
	v_and_or_b32 v52, v40, s1, 0x1000
	v_fma_f64 v[39:40], v[33:34], v[73:74], v[102:103]
	v_fma_f64 v[33:34], v[35:36], v[73:74], -v[104:105]
	v_or_b32_e32 v35, 24, v0
	s_clause 0x1
	global_load_b128 v[92:95], v51, s[12:13]
	global_load_b128 v[100:103], v52, s[12:13]
	v_mul_lo_u32 v73, v83, v114
	v_mul_lo_u32 v74, v83, v35
	v_fma_f64 v[35:36], v[9:10], v[53:54], v[106:107]
	v_fma_f64 v[9:10], v[11:12], v[53:54], -v[108:109]
	s_delay_alu instid0(VALU_DEP_4) | instskip(SKIP_3) | instid1(VALU_DEP_4)
	v_and_b32_e32 v51, 0xff, v73
	v_lshrrev_b32_e32 v11, 4, v73
	v_and_b32_e32 v12, 0xff, v74
	v_lshrrev_b32_e32 v52, 4, v74
	v_lshlrev_b32_e32 v51, 4, v51
	s_delay_alu instid0(VALU_DEP_4) | instskip(NEXT) | instid1(VALU_DEP_4)
	v_and_or_b32 v11, v11, s1, 0x1000
	v_lshlrev_b32_e32 v12, 4, v12
	s_delay_alu instid0(VALU_DEP_4)
	v_and_or_b32 v53, v52, s1, 0x1000
	global_load_b128 v[104:107], v51, s[12:13]
	v_fma_f64 v[51:52], v[13:14], v[49:50], v[110:111]
	v_fma_f64 v[13:14], v[15:16], v[49:50], -v[112:113]
	s_clause 0x2
	global_load_b128 v[108:111], v11, s[12:13]
	global_load_b128 v[112:115], v12, s[12:13]
	;; [unrolled: 1-line block ×3, first 2 shown]
	v_fma_f64 v[15:16], v[17:18], v[57:58], v[120:121]
	v_fma_f64 v[11:12], v[19:20], v[57:58], -v[59:60]
	s_waitcnt vmcnt(13) lgkmcnt(3)
	v_mul_f64 v[17:18], v[23:24], v[47:48]
	v_mul_f64 v[19:20], v[21:22], v[47:48]
	v_add_nc_u32_e32 v47, 30, v0
	s_waitcnt vmcnt(8)
	v_mul_f64 v[53:54], v[65:66], v[71:72]
	s_delay_alu instid0(VALU_DEP_2) | instskip(NEXT) | instid1(VALU_DEP_1)
	v_mul_lo_u32 v126, v83, v47
	v_and_b32_e32 v47, 0xff, v126
	v_lshrrev_b32_e32 v48, 4, v126
	s_delay_alu instid0(VALU_DEP_2) | instskip(NEXT) | instid1(VALU_DEP_2)
	v_lshlrev_b32_e32 v49, 4, v47
	v_and_or_b32 v50, v48, s1, 0x1000
	s_clause 0x1
	global_load_b128 v[57:60], v49, s[12:13]
	global_load_b128 v[120:123], v50, s[12:13]
	v_mul_f64 v[49:50], v[67:68], v[71:72]
	v_fma_f64 v[47:48], v[21:22], v[45:46], v[17:18]
	v_fma_f64 v[45:46], v[23:24], v[45:46], -v[19:20]
	s_waitcnt lgkmcnt(2)
	v_mul_f64 v[17:18], v[27:28], v[43:44]
	v_mul_f64 v[19:20], v[25:26], v[43:44]
	s_waitcnt lgkmcnt(0)
	v_mul_f64 v[43:44], v[5:6], v[63:64]
	v_fma_f64 v[53:54], v[67:68], v[69:70], v[53:54]
	v_lshrrev_b32_e32 v67, 12, v74
	v_lshrrev_b32_e32 v68, 12, v126
	v_fma_f64 v[49:50], v[65:66], v[69:70], -v[49:50]
	v_fma_f64 v[23:24], v[25:26], v[41:42], v[17:18]
	v_fma_f64 v[19:20], v[27:28], v[41:42], -v[19:20]
	v_mul_f64 v[17:18], v[31:32], v[98:99]
	v_mul_f64 v[25:26], v[29:30], v[98:99]
	;; [unrolled: 1-line block ×3, first 2 shown]
	v_fma_f64 v[124:125], v[7:8], v[61:62], -v[43:44]
	s_delay_alu instid0(VALU_DEP_4) | instskip(NEXT) | instid1(VALU_DEP_4)
	v_fma_f64 v[21:22], v[29:30], v[96:97], v[17:18]
	v_fma_f64 v[17:18], v[31:32], v[96:97], -v[25:26]
	s_delay_alu instid0(VALU_DEP_4)
	v_fma_f64 v[97:98], v[5:6], v[61:62], v[41:42]
	v_lshrrev_b32_e32 v41, 12, v91
	v_lshrrev_b32_e32 v25, 12, v89
	;; [unrolled: 1-line block ×4, first 2 shown]
	v_and_or_b32 v73, 0xff0, v67, s8
	v_and_or_b32 v41, 0xff0, v41, s8
	;; [unrolled: 1-line block ×6, first 2 shown]
	s_clause 0x3
	global_load_b128 v[25:28], v25, s[12:13]
	global_load_b128 v[29:32], v29, s[12:13]
	;; [unrolled: 1-line block ×4, first 2 shown]
	s_waitcnt vmcnt(12)
	v_mul_f64 v[5:6], v[77:78], v[81:82]
	v_mul_f64 v[7:8], v[75:76], v[81:82]
	s_waitcnt vmcnt(10)
	v_mul_f64 v[71:72], v[94:95], v[102:103]
	v_mul_f64 v[65:66], v[92:93], v[102:103]
	s_delay_alu instid0(VALU_DEP_4) | instskip(NEXT) | instid1(VALU_DEP_4)
	v_fma_f64 v[81:82], v[75:76], v[79:80], -v[5:6]
	v_fma_f64 v[102:103], v[77:78], v[79:80], v[7:8]
	s_waitcnt vmcnt(8)
	v_mul_f64 v[5:6], v[106:107], v[110:111]
	v_mul_f64 v[7:8], v[104:105], v[110:111]
	s_waitcnt vmcnt(6)
	v_mul_f64 v[77:78], v[114:115], v[118:119]
	v_mul_f64 v[79:80], v[112:113], v[118:119]
	v_fma_f64 v[110:111], v[92:93], v[100:101], -v[71:72]
	v_fma_f64 v[99:100], v[94:95], v[100:101], v[65:66]
	v_add_nc_u32_e32 v65, 36, v0
	s_delay_alu instid0(VALU_DEP_1) | instskip(NEXT) | instid1(VALU_DEP_1)
	v_mul_lo_u32 v91, v83, v65
	v_and_b32_e32 v65, 0xff, v91
	v_lshrrev_b32_e32 v66, 4, v91
	v_lshrrev_b32_e32 v91, 12, v91
	s_delay_alu instid0(VALU_DEP_3) | instskip(NEXT) | instid1(VALU_DEP_3)
	v_lshlrev_b32_e32 v65, 4, v65
	v_and_or_b32 v69, v66, s1, 0x1000
	v_fma_f64 v[104:105], v[104:105], v[108:109], -v[5:6]
	v_fma_f64 v[106:107], v[106:107], v[108:109], v[7:8]
	v_fma_f64 v[108:109], v[112:113], v[116:117], -v[77:78]
	v_fma_f64 v[112:113], v[114:115], v[116:117], v[79:80]
	s_waitcnt vmcnt(4)
	v_mul_f64 v[77:78], v[59:60], v[122:123]
	v_mul_f64 v[79:80], v[57:58], v[122:123]
	s_clause 0x3
	global_load_b128 v[65:68], v65, s[12:13]
	global_load_b128 v[69:72], v69, s[12:13]
	;; [unrolled: 1-line block ×4, first 2 shown]
	v_add_nc_u32_e32 v89, 42, v0
	v_and_or_b32 v91, 0xff0, v91, s8
	s_delay_alu instid0(VALU_DEP_2) | instskip(NEXT) | instid1(VALU_DEP_1)
	v_mul_lo_u32 v92, v83, v89
	v_lshrrev_b32_e32 v89, 4, v92
	v_and_b32_e32 v90, 0xff, v92
	v_lshrrev_b32_e32 v92, 12, v92
	s_delay_alu instid0(VALU_DEP_3) | instskip(NEXT) | instid1(VALU_DEP_3)
	v_and_or_b32 v89, v89, s1, 0x1000
	v_lshlrev_b32_e32 v90, 4, v90
	s_delay_alu instid0(VALU_DEP_3)
	v_and_or_b32 v92, 0xff0, v92, s8
	v_fma_f64 v[114:115], v[57:58], v[120:121], -v[77:78]
	v_fma_f64 v[116:117], v[59:60], v[120:121], v[79:80]
	s_clause 0x1
	global_load_b128 v[57:60], v89, s[12:13]
	global_load_b128 v[77:80], v90, s[12:13]
	s_waitcnt vmcnt(4)
	v_mul_f64 v[89:90], v[67:68], v[71:72]
	v_mul_f64 v[71:72], v[65:66], v[71:72]
	s_delay_alu instid0(VALU_DEP_2) | instskip(NEXT) | instid1(VALU_DEP_2)
	v_fma_f64 v[118:119], v[65:66], v[69:70], -v[89:90]
	v_fma_f64 v[120:121], v[67:68], v[69:70], v[71:72]
	s_waitcnt vmcnt(0)
	v_mul_f64 v[89:90], v[79:80], v[59:60]
	v_mul_f64 v[59:60], v[77:78], v[59:60]
	s_clause 0x1
	global_load_b128 v[65:68], v91, s[12:13]
	global_load_b128 v[69:72], v92, s[12:13]
	v_fma_f64 v[122:123], v[77:78], v[57:58], -v[89:90]
	v_fma_f64 v[126:127], v[79:80], v[57:58], v[59:60]
	v_or_b32_e32 v57, 48, v0
	v_add_nc_u32_e32 v0, 54, v0
	s_delay_alu instid0(VALU_DEP_2) | instskip(NEXT) | instid1(VALU_DEP_2)
	v_mul_lo_u32 v91, v83, v57
	v_mul_lo_u32 v0, v83, v0
	s_delay_alu instid0(VALU_DEP_2) | instskip(SKIP_1) | instid1(VALU_DEP_2)
	v_and_b32_e32 v57, 0xff, v91
	v_lshrrev_b32_e32 v58, 4, v91
	v_lshlrev_b32_e32 v57, 4, v57
	s_delay_alu instid0(VALU_DEP_2)
	v_and_or_b32 v77, v58, s1, 0x1000
	s_clause 0x1
	global_load_b128 v[57:60], v57, s[12:13]
	global_load_b128 v[77:80], v77, s[12:13]
	s_waitcnt vmcnt(0)
	v_mul_f64 v[89:90], v[59:60], v[79:80]
	s_delay_alu instid0(VALU_DEP_1) | instskip(SKIP_1) | instid1(VALU_DEP_1)
	v_fma_f64 v[128:129], v[57:58], v[77:78], -v[89:90]
	v_mul_f64 v[57:58], v[57:58], v[79:80]
	v_fma_f64 v[130:131], v[59:60], v[77:78], v[57:58]
	v_lshrrev_b32_e32 v57, 4, v0
	v_and_b32_e32 v58, 0xff, v0
	v_lshrrev_b32_e32 v59, 12, v91
	v_lshrrev_b32_e32 v0, 12, v0
	s_delay_alu instid0(VALU_DEP_4) | instskip(NEXT) | instid1(VALU_DEP_4)
	v_and_or_b32 v57, v57, s1, 0x1000
	v_lshlrev_b32_e32 v77, 4, v58
	s_delay_alu instid0(VALU_DEP_4) | instskip(NEXT) | instid1(VALU_DEP_4)
	v_and_or_b32 v83, 0xff0, v59, s8
	v_and_or_b32 v0, 0xff0, v0, s8
	s_clause 0x3
	global_load_b128 v[57:60], v57, s[12:13]
	global_load_b128 v[77:80], v77, s[12:13]
	;; [unrolled: 1-line block ×4, first 2 shown]
	s_mov_b32 s8, s16
	s_mov_b32 s13, 0x3fe2cf23
	;; [unrolled: 1-line block ×3, first 2 shown]
	s_mul_i32 s1, s15, s2
	s_waitcnt vmcnt(2)
	v_mul_f64 v[132:133], v[79:80], v[59:60]
	v_mul_f64 v[59:60], v[77:78], v[59:60]
	s_delay_alu instid0(VALU_DEP_2) | instskip(NEXT) | instid1(VALU_DEP_2)
	v_fma_f64 v[132:133], v[77:78], v[57:58], -v[132:133]
	v_fma_f64 v[57:58], v[79:80], v[57:58], v[59:60]
	v_mul_f64 v[59:60], v[53:54], v[27:28]
	v_mul_f64 v[27:28], v[49:50], v[27:28]
	v_add_f64 v[79:80], v[1:2], v[39:40]
	s_delay_alu instid0(VALU_DEP_3) | instskip(NEXT) | instid1(VALU_DEP_3)
	v_fma_f64 v[59:60], v[25:26], v[49:50], -v[59:60]
	v_fma_f64 v[25:26], v[25:26], v[53:54], v[27:28]
	v_mul_f64 v[27:28], v[102:103], v[31:32]
	s_delay_alu instid0(VALU_DEP_4) | instskip(NEXT) | instid1(VALU_DEP_2)
	v_add_f64 v[79:80], v[79:80], v[51:52]
	v_fma_f64 v[49:50], v[29:30], v[81:82], -v[27:28]
	v_mul_f64 v[27:28], v[81:82], v[31:32]
	v_mul_f64 v[31:32], v[106:107], v[63:64]
	v_add_f64 v[81:82], v[3:4], v[33:34]
	s_delay_alu instid0(VALU_DEP_3) | instskip(SKIP_2) | instid1(VALU_DEP_2)
	v_fma_f64 v[27:28], v[29:30], v[102:103], v[27:28]
	v_mul_f64 v[29:30], v[99:100], v[43:44]
	v_add_f64 v[101:102], v[17:18], -v[45:46]
	v_fma_f64 v[53:54], v[41:42], v[110:111], -v[29:30]
	v_mul_f64 v[29:30], v[110:111], v[43:44]
	v_fma_f64 v[43:44], v[61:62], v[104:105], -v[31:32]
	v_mul_f64 v[31:32], v[112:113], v[75:76]
	s_delay_alu instid0(VALU_DEP_3) | instskip(SKIP_2) | instid1(VALU_DEP_4)
	v_fma_f64 v[29:30], v[41:42], v[99:100], v[29:30]
	v_mul_f64 v[41:42], v[104:105], v[63:64]
	v_add_f64 v[63:64], v[51:52], v[47:48]
	v_fma_f64 v[77:78], v[73:74], v[108:109], -v[31:32]
	v_add_f64 v[31:32], v[13:14], v[45:46]
	v_add_f64 v[99:100], v[47:48], -v[21:22]
	v_add_f64 v[103:104], v[45:46], -v[17:18]
	v_fma_f64 v[41:42], v[61:62], v[106:107], v[41:42]
	v_mul_f64 v[61:62], v[108:109], v[75:76]
	v_add_f64 v[75:76], v[39:40], v[21:22]
	v_fma_f64 v[63:64], v[63:64], -0.5, v[1:2]
	v_fma_f64 v[31:32], v[31:32], -0.5, v[3:4]
	v_add_f64 v[105:106], v[97:98], -v[23:24]
	v_add_f64 v[107:108], v[23:24], -v[97:98]
	;; [unrolled: 1-line block ×3, first 2 shown]
	v_fma_f64 v[61:62], v[73:74], v[112:113], v[61:62]
	v_add_f64 v[73:74], v[33:34], v[17:18]
	v_fma_f64 v[0:1], v[75:76], -0.5, v[1:2]
	v_add_f64 v[75:76], v[21:22], -v[47:48]
	v_add_f64 v[111:112], v[19:20], -v[124:125]
	s_delay_alu instid0(VALU_DEP_4) | instskip(SKIP_1) | instid1(VALU_DEP_1)
	v_fma_f64 v[2:3], v[73:74], -0.5, v[3:4]
	v_add_f64 v[73:74], v[39:40], -v[51:52]
	v_add_f64 v[73:74], v[73:74], v[75:76]
	v_add_f64 v[75:76], v[51:52], -v[39:40]
	v_add_f64 v[51:52], v[51:52], -v[47:48]
	v_add_f64 v[47:48], v[79:80], v[47:48]
	v_add_f64 v[79:80], v[81:82], v[13:14]
	;; [unrolled: 1-line block ×4, first 2 shown]
	v_add_f64 v[99:100], v[33:34], -v[13:14]
	s_delay_alu instid0(VALU_DEP_3) | instskip(NEXT) | instid1(VALU_DEP_2)
	v_fma_f64 v[81:82], v[81:82], -0.5, v[55:56]
	v_add_f64 v[99:100], v[99:100], v[101:102]
	v_add_f64 v[101:102], v[13:14], -v[33:34]
	v_add_f64 v[13:14], v[13:14], -v[45:46]
	v_add_f64 v[45:46], v[79:80], v[45:46]
	v_add_f64 v[79:80], v[15:16], v[23:24]
	v_add_f64 v[33:34], v[33:34], -v[17:18]
	v_add_f64 v[101:102], v[101:102], v[103:104]
	v_add_f64 v[103:104], v[35:36], -v[15:16]
	v_add_f64 v[17:18], v[45:46], v[17:18]
	v_fma_f64 v[79:80], v[79:80], -0.5, v[55:56]
	v_add_f64 v[55:56], v[55:56], v[35:36]
	v_fma_f64 v[45:46], v[51:52], s[16:17], v[2:3]
	v_fma_f64 v[2:3], v[51:52], s[8:9], v[2:3]
	v_add_f64 v[103:104], v[103:104], v[105:106]
	v_add_f64 v[105:106], v[15:16], -v[35:36]
	v_add_f64 v[35:36], v[35:36], -v[97:98]
	v_add_f64 v[55:56], v[55:56], v[15:16]
	v_add_f64 v[15:16], v[15:16], -v[23:24]
	s_delay_alu instid0(VALU_DEP_4) | instskip(SKIP_1) | instid1(VALU_DEP_4)
	v_add_f64 v[105:106], v[105:106], v[107:108]
	v_add_f64 v[107:108], v[9:10], -v[11:12]
	v_add_f64 v[23:24], v[55:56], v[23:24]
	v_add_f64 v[55:56], v[11:12], v[19:20]
	s_delay_alu instid0(VALU_DEP_3) | instskip(SKIP_1) | instid1(VALU_DEP_3)
	v_add_f64 v[107:108], v[107:108], v[109:110]
	v_add_f64 v[109:110], v[11:12], -v[9:10]
	v_fma_f64 v[55:56], v[55:56], -0.5, v[37:38]
	v_add_f64 v[23:24], v[23:24], v[97:98]
	v_mul_f64 v[97:98], v[114:115], v[7:8]
	v_mul_f64 v[7:8], v[116:117], v[7:8]
	v_add_f64 v[109:110], v[109:110], v[111:112]
	v_add_f64 v[111:112], v[9:10], v[124:125]
	s_delay_alu instid0(VALU_DEP_1) | instskip(SKIP_2) | instid1(VALU_DEP_2)
	v_fma_f64 v[111:112], v[111:112], -0.5, v[37:38]
	v_add_f64 v[37:38], v[37:38], v[9:10]
	v_add_f64 v[9:10], v[9:10], -v[124:125]
	v_add_f64 v[37:38], v[37:38], v[11:12]
	v_add_f64 v[11:12], v[11:12], -v[19:20]
	s_delay_alu instid0(VALU_DEP_2)
	v_add_f64 v[19:20], v[37:38], v[19:20]
	v_add_f64 v[37:38], v[39:40], -v[21:22]
	v_add_f64 v[21:22], v[47:48], v[21:22]
	v_fma_f64 v[39:40], v[33:34], s[16:17], v[63:64]
	v_fma_f64 v[47:48], v[33:34], s[8:9], v[63:64]
	;; [unrolled: 1-line block ×4, first 2 shown]
	v_add_f64 v[19:20], v[19:20], v[124:125]
	v_fma_f64 v[45:46], v[37:38], s[12:13], v[45:46]
	v_fma_f64 v[2:3], v[37:38], s[18:19], v[2:3]
	v_fma_f64 v[39:40], v[13:14], s[18:19], v[39:40]
	v_fma_f64 v[13:14], v[13:14], s[12:13], v[47:48]
	v_fma_f64 v[47:48], v[33:34], s[18:19], v[63:64]
	v_fma_f64 v[0:1], v[33:34], s[12:13], v[0:1]
	v_fma_f64 v[33:34], v[37:38], s[8:9], v[31:32]
	v_fma_f64 v[31:32], v[37:38], s[16:17], v[31:32]
	v_fma_f64 v[63:64], v[15:16], s[16:17], v[111:112]
	v_fma_f64 v[111:112], v[15:16], s[8:9], v[111:112]
	v_fma_f64 v[45:46], v[101:102], s[20:21], v[45:46]
	v_fma_f64 v[2:3], v[101:102], s[20:21], v[2:3]
	v_fma_f64 v[37:38], v[73:74], s[20:21], v[39:40]
	v_fma_f64 v[13:14], v[73:74], s[20:21], v[13:14]
	v_fma_f64 v[39:40], v[75:76], s[20:21], v[47:48]
	v_fma_f64 v[0:1], v[75:76], s[20:21], v[0:1]
	v_fma_f64 v[33:34], v[51:52], s[12:13], v[33:34]
	v_fma_f64 v[31:32], v[51:52], s[18:19], v[31:32]
	v_fma_f64 v[51:52], v[35:36], s[8:9], v[55:56]
	v_fma_f64 v[55:56], v[35:36], s[16:17], v[55:56]
	s_delay_alu instid0(VALU_DEP_4) | instskip(NEXT) | instid1(VALU_DEP_4)
	v_fma_f64 v[33:34], v[99:100], s[20:21], v[33:34]
	v_fma_f64 v[31:32], v[99:100], s[20:21], v[31:32]
	s_delay_alu instid0(VALU_DEP_4) | instskip(NEXT) | instid1(VALU_DEP_4)
	v_fma_f64 v[51:52], v[15:16], s[12:13], v[51:52]
	v_fma_f64 v[15:16], v[15:16], s[18:19], v[55:56]
	;; [unrolled: 1-line block ×8, first 2 shown]
	v_mul_f64 v[99:100], v[118:119], v[67:68]
	v_mul_f64 v[67:68], v[120:121], v[67:68]
	v_fma_f64 v[51:52], v[107:108], s[20:21], v[51:52]
	v_fma_f64 v[15:16], v[107:108], s[20:21], v[15:16]
	;; [unrolled: 1-line block ×8, first 2 shown]
	v_mul_f64 v[75:76], v[55:56], s[16:17]
	v_mul_f64 v[55:56], v[55:56], s[20:21]
	v_fma_f64 v[47:48], v[103:104], s[20:21], v[63:64]
	v_mul_f64 v[63:64], v[51:52], s[18:19]
	v_fma_f64 v[73:74], v[105:106], s[20:21], v[79:80]
	v_mul_f64 v[79:80], v[35:36], s[16:17]
	s_mov_b32 s17, 0xbfe9e377
	s_mov_b32 s16, s22
	v_mul_f64 v[51:52], v[51:52], s[22:23]
	v_fma_f64 v[9:10], v[105:106], s[20:21], v[9:10]
	v_mul_f64 v[35:36], v[35:36], s[24:25]
	v_fma_f64 v[11:12], v[103:104], s[20:21], v[11:12]
	v_mul_f64 v[81:82], v[15:16], s[16:17]
	v_mul_f64 v[15:16], v[15:16], s[18:19]
	v_fma_f64 v[63:64], v[47:48], s[22:23], v[63:64]
	v_fma_f64 v[75:76], v[73:74], s[20:21], v[75:76]
	;; [unrolled: 1-line block ×3, first 2 shown]
	s_waitcnt vmcnt(1)
	v_mul_f64 v[73:74], v[128:129], v[91:92]
	v_mul_f64 v[91:92], v[130:131], v[91:92]
	v_fma_f64 v[47:48], v[47:48], s[12:13], v[51:52]
	v_mul_f64 v[51:52], v[122:123], v[71:72]
	v_fma_f64 v[79:80], v[9:10], s[24:25], v[79:80]
	v_fma_f64 v[9:10], v[9:10], s[8:9], v[35:36]
	s_waitcnt vmcnt(0)
	v_mul_f64 v[35:36], v[132:133], v[95:96]
	v_fma_f64 v[81:82], v[11:12], s[12:13], v[81:82]
	v_fma_f64 v[11:12], v[11:12], s[16:17], v[15:16]
	;; [unrolled: 1-line block ×4, first 2 shown]
	v_mul_f64 v[71:72], v[126:127], v[71:72]
	v_mul_f64 v[95:96], v[57:58], v[95:96]
	v_add_f64 v[99:100], v[17:18], v[19:20]
	v_add_f64 v[17:18], v[17:18], -v[19:20]
	s_mul_hi_u32 s8, s14, s2
	s_delay_alu instid0(SALU_CYCLE_1)
	s_add_i32 s8, s8, s1
	s_mul_i32 s1, s14, s2
	v_add_f64 v[19:20], v[37:38], v[63:64]
	v_add_f64 v[63:64], v[37:38], -v[63:64]
	v_add_f64 v[37:38], v[39:40], v[75:76]
	v_fma_f64 v[73:74], v[89:90], v[130:131], v[73:74]
	v_add_f64 v[75:76], v[39:40], -v[75:76]
	v_add_f64 v[101:102], v[33:34], v[47:48]
	v_fma_f64 v[51:52], v[69:70], v[126:127], v[51:52]
	v_add_f64 v[39:40], v[0:1], v[79:80]
	v_add_f64 v[79:80], v[0:1], -v[79:80]
	v_fma_f64 v[35:36], v[93:94], v[57:58], v[35:36]
	v_add_f64 v[57:58], v[21:22], v[23:24]
	v_add_f64 v[21:22], v[21:22], -v[23:24]
	v_add_f64 v[47:48], v[33:34], -v[47:48]
	v_add_f64 v[103:104], v[45:46], v[55:56]
	v_add_f64 v[45:46], v[45:46], -v[55:56]
	v_add_f64 v[55:56], v[2:3], v[9:10]
	;; [unrolled: 2-line block ×4, first 2 shown]
	v_add_f64 v[109:110], v[13:14], -v[11:12]
	v_fma_f64 v[2:3], v[5:6], v[114:115], -v[7:8]
	v_fma_f64 v[4:5], v[65:66], v[118:119], -v[67:68]
	;; [unrolled: 1-line block ×5, first 2 shown]
	v_mul_f64 v[0:1], v[99:100], v[25:26]
	v_mul_f64 v[13:14], v[17:18], v[15:16]
	;; [unrolled: 1-line block ×20, first 2 shown]
	v_fma_f64 v[24:25], v[57:58], v[59:60], v[0:1]
	v_fma_f64 v[0:1], v[21:22], v[2:3], v[13:14]
	;; [unrolled: 1-line block ×3, first 2 shown]
	v_fma_f64 v[30:31], v[101:102], v[49:50], -v[33:34]
	v_fma_f64 v[34:35], v[103:104], v[53:54], -v[71:72]
	v_add_nc_u32_e32 v49, 6, v87
	v_fma_f64 v[26:27], v[99:100], v[59:60], -v[11:12]
	v_fma_f64 v[2:3], v[17:18], v[2:3], -v[15:16]
	v_fma_f64 v[32:33], v[37:38], v[53:54], v[69:70]
	v_fma_f64 v[12:13], v[75:76], v[6:7], v[97:98]
	;; [unrolled: 1-line block ×3, first 2 shown]
	v_fma_f64 v[38:39], v[55:56], v[43:44], -v[41:42]
	v_fma_f64 v[20:21], v[107:108], v[77:78], v[91:92]
	v_fma_f64 v[14:15], v[45:46], v[6:7], -v[51:52]
	v_fma_f64 v[22:23], v[9:10], v[77:78], -v[61:62]
	v_fma_f64 v[8:9], v[63:64], v[4:5], v[93:94]
	v_fma_f64 v[10:11], v[47:48], v[4:5], -v[95:96]
	v_fma_f64 v[16:17], v[79:80], v[65:66], v[111:112]
	;; [unrolled: 2-line block ×3, first 2 shown]
	v_fma_f64 v[6:7], v[81:82], v[67:68], -v[115:116]
	v_add_co_u32 v40, s1, s1, v85
	s_delay_alu instid0(VALU_DEP_1) | instskip(SKIP_3) | instid1(VALU_DEP_4)
	v_add_co_ci_u32_e64 v41, s1, s8, v86, s1
	v_add_nc_u32_e32 v48, 12, v87
	v_add_nc_u32_e32 v47, 18, v87
	v_or_b32_e32 v46, 24, v87
	v_lshlrev_b64 v[40:41], 4, v[40:41]
	v_add_nc_u32_e32 v44, 36, v87
	v_add_nc_u32_e32 v45, 42, v87
	v_or_b32_e32 v43, 48, v87
	v_add_nc_u32_e32 v42, 54, v87
	s_and_b32 s1, s0, s3
	s_delay_alu instid0(SALU_CYCLE_1)
	s_and_saveexec_b32 s2, s1
	s_cbranch_execz .LBB0_27
; %bb.26:
	v_mad_u64_u32 v[50:51], null, s6, v88, 0
	v_mad_u64_u32 v[52:53], null, s4, v87, 0
	;; [unrolled: 1-line block ×4, first 2 shown]
	s_delay_alu instid0(VALU_DEP_3) | instskip(NEXT) | instid1(VALU_DEP_3)
	v_mad_u64_u32 v[58:59], null, s7, v88, v[51:52]
	v_mov_b32_e32 v51, v55
	s_delay_alu instid0(VALU_DEP_4) | instskip(SKIP_1) | instid1(VALU_DEP_3)
	v_mad_u64_u32 v[61:62], null, s5, v87, v[53:54]
	v_mad_u64_u32 v[59:60], null, s4, v47, 0
	;; [unrolled: 1-line block ×3, first 2 shown]
	v_mov_b32_e32 v51, v58
	v_mov_b32_e32 v55, v57
	v_add_co_u32 v58, s1, s10, v40
	s_delay_alu instid0(VALU_DEP_1) | instskip(NEXT) | instid1(VALU_DEP_4)
	v_add_co_ci_u32_e64 v65, s1, s11, v41, s1
	v_lshlrev_b64 v[50:51], 4, v[50:51]
	v_mov_b32_e32 v57, v60
	v_mad_u64_u32 v[63:64], null, s5, v48, v[55:56]
	v_mov_b32_e32 v53, v61
	v_mov_b32_e32 v55, v62
	v_add_co_u32 v67, s1, v58, v50
	s_delay_alu instid0(VALU_DEP_1) | instskip(NEXT) | instid1(VALU_DEP_4)
	v_add_co_ci_u32_e64 v68, s1, v65, v51, s1
	v_lshlrev_b64 v[50:51], 4, v[52:53]
	s_delay_alu instid0(VALU_DEP_4) | instskip(SKIP_4) | instid1(VALU_DEP_1)
	v_lshlrev_b64 v[52:53], 4, v[54:55]
	v_mad_u64_u32 v[54:55], null, s5, v47, v[57:58]
	v_mad_u64_u32 v[61:62], null, s4, v46, 0
	v_mov_b32_e32 v57, v63
	v_add_co_u32 v50, s1, v67, v50
	v_add_co_ci_u32_e64 v51, s1, v68, v51, s1
	v_mov_b32_e32 v60, v54
	s_delay_alu instid0(VALU_DEP_4) | instskip(SKIP_2) | instid1(VALU_DEP_4)
	v_lshlrev_b64 v[55:56], 4, v[56:57]
	v_mov_b32_e32 v54, v62
	v_add_co_u32 v52, s1, v67, v52
	v_lshlrev_b64 v[57:58], 4, v[59:60]
	v_add_co_ci_u32_e64 v53, s1, v68, v53, s1
	s_delay_alu instid0(VALU_DEP_4) | instskip(SKIP_1) | instid1(VALU_DEP_1)
	v_mad_u64_u32 v[59:60], null, s5, v46, v[54:55]
	v_add_co_u32 v54, s1, v67, v55
	v_add_co_ci_u32_e64 v55, s1, v68, v56, s1
	v_mad_u64_u32 v[63:64], null, s4, v84, 0
	v_add_co_u32 v56, s1, v67, v57
	s_delay_alu instid0(VALU_DEP_1)
	v_add_co_ci_u32_e64 v57, s1, v68, v58, s1
	s_clause 0x3
	global_store_b128 v[50:51], v[24:27], off
	global_store_b128 v[52:53], v[28:31], off
	;; [unrolled: 1-line block ×4, first 2 shown]
	v_mad_u64_u32 v[53:54], null, s4, v44, 0
	v_mov_b32_e32 v62, v59
	v_mov_b32_e32 v52, v64
	v_mad_u64_u32 v[55:56], null, s4, v45, 0
	v_mad_u64_u32 v[65:66], null, s4, v42, 0
	s_delay_alu instid0(VALU_DEP_4) | instskip(NEXT) | instid1(VALU_DEP_4)
	v_lshlrev_b64 v[50:51], 4, v[61:62]
	v_mad_u64_u32 v[57:58], null, s5, v84, v[52:53]
	v_mov_b32_e32 v52, v54
	v_mad_u64_u32 v[58:59], null, s4, v43, 0
	s_delay_alu instid0(VALU_DEP_4) | instskip(NEXT) | instid1(VALU_DEP_1)
	v_add_co_u32 v50, s1, v67, v50
	v_add_co_ci_u32_e64 v51, s1, v68, v51, s1
	v_mov_b32_e32 v64, v57
	v_mov_b32_e32 v54, v56
	v_mad_u64_u32 v[60:61], null, s5, v44, v[52:53]
	global_store_b128 v[50:51], v[20:23], off
	v_lshlrev_b64 v[51:52], 4, v[63:64]
	v_mov_b32_e32 v50, v59
	v_mad_u64_u32 v[61:62], null, s5, v45, v[54:55]
	v_mov_b32_e32 v54, v60
	s_delay_alu instid0(VALU_DEP_3)
	v_mad_u64_u32 v[59:60], null, s5, v43, v[50:51]
	v_mov_b32_e32 v50, v66
	v_add_co_u32 v51, s1, v67, v51
	v_mov_b32_e32 v56, v61
	v_lshlrev_b64 v[53:54], 4, v[53:54]
	v_add_co_ci_u32_e64 v52, s1, v68, v52, s1
	s_delay_alu instid0(VALU_DEP_4) | instskip(NEXT) | instid1(VALU_DEP_4)
	v_mad_u64_u32 v[60:61], null, s5, v42, v[50:51]
	v_lshlrev_b64 v[55:56], 4, v[55:56]
	s_delay_alu instid0(VALU_DEP_4) | instskip(SKIP_4) | instid1(VALU_DEP_1)
	v_add_co_u32 v53, s1, v67, v53
	v_lshlrev_b64 v[57:58], 4, v[58:59]
	v_add_co_ci_u32_e64 v54, s1, v68, v54, s1
	v_mov_b32_e32 v66, v60
	v_add_co_u32 v55, s1, v67, v55
	v_add_co_ci_u32_e64 v56, s1, v68, v56, s1
	s_delay_alu instid0(VALU_DEP_3) | instskip(SKIP_1) | instid1(VALU_DEP_1)
	v_lshlrev_b64 v[59:60], 4, v[65:66]
	v_add_co_u32 v57, s1, v67, v57
	v_add_co_ci_u32_e64 v58, s1, v68, v58, s1
	s_delay_alu instid0(VALU_DEP_3) | instskip(NEXT) | instid1(VALU_DEP_1)
	v_add_co_u32 v59, s1, v67, v59
	v_add_co_ci_u32_e64 v60, s1, v68, v60, s1
	s_clause 0x4
	global_store_b128 v[51:52], v[0:3], off
	global_store_b128 v[53:54], v[8:11], off
	global_store_b128 v[55:56], v[12:15], off
	global_store_b128 v[57:58], v[16:19], off
	global_store_b128 v[59:60], v[4:7], off
.LBB0_27:
	s_or_b32 exec_lo, exec_lo, s2
	s_xor_b32 s1, s3, -1
	s_and_b32 s0, s0, vcc_lo
	s_delay_alu instid0(SALU_CYCLE_1) | instskip(NEXT) | instid1(SALU_CYCLE_1)
	s_and_b32 s0, s1, s0
	s_and_saveexec_b32 s1, s0
	s_cbranch_execz .LBB0_29
; %bb.28:
	v_mad_u64_u32 v[50:51], null, s6, v88, 0
	v_mad_u64_u32 v[52:53], null, s4, v87, 0
	;; [unrolled: 1-line block ×4, first 2 shown]
	s_delay_alu instid0(VALU_DEP_3) | instskip(SKIP_1) | instid1(VALU_DEP_4)
	v_mad_u64_u32 v[58:59], null, s7, v88, v[51:52]
	v_mad_u64_u32 v[59:60], null, s4, v47, 0
	v_mov_b32_e32 v51, v55
	v_mad_u64_u32 v[61:62], null, s5, v87, v[53:54]
	v_mov_b32_e32 v55, v57
	s_delay_alu instid0(VALU_DEP_3) | instskip(SKIP_3) | instid1(VALU_DEP_3)
	v_mad_u64_u32 v[62:63], null, s5, v49, v[51:52]
	v_mov_b32_e32 v51, v58
	v_add_co_u32 v63, vcc_lo, s10, v40
	v_add_co_ci_u32_e32 v41, vcc_lo, s11, v41, vcc_lo
	v_lshlrev_b64 v[49:50], 4, v[50:51]
	v_dual_mov_b32 v40, v60 :: v_dual_mov_b32 v53, v61
	v_mad_u64_u32 v[57:58], null, s5, v48, v[55:56]
	v_mov_b32_e32 v55, v62
	s_delay_alu instid0(VALU_DEP_4) | instskip(NEXT) | instid1(VALU_DEP_4)
	v_add_co_u32 v58, vcc_lo, v63, v49
	v_lshlrev_b64 v[48:49], 4, v[52:53]
	v_mad_u64_u32 v[52:53], null, s5, v47, v[40:41]
	v_add_co_ci_u32_e32 v61, vcc_lo, v41, v50, vcc_lo
	v_lshlrev_b64 v[50:51], 4, v[54:55]
	s_delay_alu instid0(VALU_DEP_4)
	v_add_co_u32 v47, vcc_lo, v58, v48
	v_mad_u64_u32 v[40:41], null, s4, v46, 0
	v_mov_b32_e32 v60, v52
	v_add_co_ci_u32_e32 v48, vcc_lo, v61, v49, vcc_lo
	v_lshlrev_b64 v[53:54], 4, v[56:57]
	v_add_co_u32 v49, vcc_lo, v58, v50
	v_add_co_ci_u32_e32 v50, vcc_lo, v61, v51, vcc_lo
	v_lshlrev_b64 v[51:52], 4, v[59:60]
	s_delay_alu instid0(VALU_DEP_4)
	v_add_co_u32 v53, vcc_lo, v58, v53
	v_mad_u64_u32 v[55:56], null, s5, v46, v[41:42]
	v_add_co_ci_u32_e32 v54, vcc_lo, v61, v54, vcc_lo
	v_mad_u64_u32 v[56:57], null, s4, v84, 0
	v_add_co_u32 v51, vcc_lo, v58, v51
	v_add_co_ci_u32_e32 v52, vcc_lo, v61, v52, vcc_lo
	s_clause 0x3
	global_store_b128 v[47:48], v[24:27], off
	global_store_b128 v[49:50], v[28:31], off
	;; [unrolled: 1-line block ×4, first 2 shown]
	v_mad_u64_u32 v[27:28], null, s4, v44, 0
	v_mad_u64_u32 v[29:30], null, s4, v45, 0
	v_dual_mov_b32 v41, v55 :: v_dual_mov_b32 v26, v57
	s_delay_alu instid0(VALU_DEP_1) | instskip(NEXT) | instid1(VALU_DEP_4)
	v_mad_u64_u32 v[31:32], null, s5, v84, v[26:27]
	v_mov_b32_e32 v26, v28
	s_delay_alu instid0(VALU_DEP_4) | instskip(NEXT) | instid1(VALU_DEP_4)
	v_mov_b32_e32 v28, v30
	v_lshlrev_b64 v[24:25], 4, v[40:41]
	v_mad_u64_u32 v[32:33], null, s4, v43, 0
	s_delay_alu instid0(VALU_DEP_4) | instskip(SKIP_1) | instid1(VALU_DEP_4)
	v_mad_u64_u32 v[34:35], null, s5, v44, v[26:27]
	v_mov_b32_e32 v57, v31
	v_add_co_u32 v24, vcc_lo, v58, v24
	v_add_co_ci_u32_e32 v25, vcc_lo, v61, v25, vcc_lo
	v_mad_u64_u32 v[35:36], null, s5, v45, v[28:29]
	v_mov_b32_e32 v28, v34
	global_store_b128 v[24:25], v[20:23], off
	v_lshlrev_b64 v[21:22], 4, v[56:57]
	v_mad_u64_u32 v[36:37], null, s4, v42, 0
	v_mov_b32_e32 v20, v33
	s_delay_alu instid0(VALU_DEP_1) | instskip(NEXT) | instid1(VALU_DEP_3)
	v_mad_u64_u32 v[23:24], null, s5, v43, v[20:21]
	v_mov_b32_e32 v20, v37
	v_add_co_u32 v21, vcc_lo, v58, v21
	v_lshlrev_b64 v[24:25], 4, v[27:28]
	v_add_co_ci_u32_e32 v22, vcc_lo, v61, v22, vcc_lo
	v_mov_b32_e32 v33, v23
	s_delay_alu instid0(VALU_DEP_4) | instskip(SKIP_3) | instid1(VALU_DEP_4)
	v_mad_u64_u32 v[26:27], null, s5, v42, v[20:21]
	v_mov_b32_e32 v30, v35
	v_add_co_u32 v23, vcc_lo, v58, v24
	v_add_co_ci_u32_e32 v24, vcc_lo, v61, v25, vcc_lo
	v_mov_b32_e32 v37, v26
	s_delay_alu instid0(VALU_DEP_4) | instskip(SKIP_1) | instid1(VALU_DEP_2)
	v_lshlrev_b64 v[27:28], 4, v[29:30]
	v_lshlrev_b64 v[29:30], 4, v[32:33]
	v_add_co_u32 v25, vcc_lo, v58, v27
	s_delay_alu instid0(VALU_DEP_3) | instskip(SKIP_1) | instid1(VALU_DEP_4)
	v_add_co_ci_u32_e32 v26, vcc_lo, v61, v28, vcc_lo
	v_lshlrev_b64 v[27:28], 4, v[36:37]
	v_add_co_u32 v29, vcc_lo, v58, v29
	v_add_co_ci_u32_e32 v30, vcc_lo, v61, v30, vcc_lo
	s_delay_alu instid0(VALU_DEP_3) | instskip(NEXT) | instid1(VALU_DEP_4)
	v_add_co_u32 v27, vcc_lo, v58, v27
	v_add_co_ci_u32_e32 v28, vcc_lo, v61, v28, vcc_lo
	s_clause 0x4
	global_store_b128 v[21:22], v[0:3], off
	global_store_b128 v[23:24], v[8:11], off
	;; [unrolled: 1-line block ×5, first 2 shown]
.LBB0_29:
	s_nop 0
	s_sendmsg sendmsg(MSG_DEALLOC_VGPRS)
	s_endpgm
	.section	.rodata,"a",@progbits
	.p2align	6, 0x0
	.amdhsa_kernel fft_rtc_back_len60_factors_6_10_wgs_160_tpt_10_dp_op_CI_CI_sbcc_twdbase8_3step_dirReg_intrinsicRead
		.amdhsa_group_segment_fixed_size 0
		.amdhsa_private_segment_fixed_size 0
		.amdhsa_kernarg_size 112
		.amdhsa_user_sgpr_count 15
		.amdhsa_user_sgpr_dispatch_ptr 0
		.amdhsa_user_sgpr_queue_ptr 0
		.amdhsa_user_sgpr_kernarg_segment_ptr 1
		.amdhsa_user_sgpr_dispatch_id 0
		.amdhsa_user_sgpr_private_segment_size 0
		.amdhsa_wavefront_size32 1
		.amdhsa_uses_dynamic_stack 0
		.amdhsa_enable_private_segment 0
		.amdhsa_system_sgpr_workgroup_id_x 1
		.amdhsa_system_sgpr_workgroup_id_y 0
		.amdhsa_system_sgpr_workgroup_id_z 0
		.amdhsa_system_sgpr_workgroup_info 0
		.amdhsa_system_vgpr_workitem_id 0
		.amdhsa_next_free_vgpr 134
		.amdhsa_next_free_sgpr 54
		.amdhsa_reserve_vcc 1
		.amdhsa_float_round_mode_32 0
		.amdhsa_float_round_mode_16_64 0
		.amdhsa_float_denorm_mode_32 3
		.amdhsa_float_denorm_mode_16_64 3
		.amdhsa_dx10_clamp 1
		.amdhsa_ieee_mode 1
		.amdhsa_fp16_overflow 0
		.amdhsa_workgroup_processor_mode 1
		.amdhsa_memory_ordered 1
		.amdhsa_forward_progress 0
		.amdhsa_shared_vgpr_count 0
		.amdhsa_exception_fp_ieee_invalid_op 0
		.amdhsa_exception_fp_denorm_src 0
		.amdhsa_exception_fp_ieee_div_zero 0
		.amdhsa_exception_fp_ieee_overflow 0
		.amdhsa_exception_fp_ieee_underflow 0
		.amdhsa_exception_fp_ieee_inexact 0
		.amdhsa_exception_int_div_zero 0
	.end_amdhsa_kernel
	.text
.Lfunc_end0:
	.size	fft_rtc_back_len60_factors_6_10_wgs_160_tpt_10_dp_op_CI_CI_sbcc_twdbase8_3step_dirReg_intrinsicRead, .Lfunc_end0-fft_rtc_back_len60_factors_6_10_wgs_160_tpt_10_dp_op_CI_CI_sbcc_twdbase8_3step_dirReg_intrinsicRead
                                        ; -- End function
	.section	.AMDGPU.csdata,"",@progbits
; Kernel info:
; codeLenInByte = 7952
; NumSgprs: 56
; NumVgprs: 134
; ScratchSize: 0
; MemoryBound: 0
; FloatMode: 240
; IeeeMode: 1
; LDSByteSize: 0 bytes/workgroup (compile time only)
; SGPRBlocks: 6
; VGPRBlocks: 16
; NumSGPRsForWavesPerEU: 56
; NumVGPRsForWavesPerEU: 134
; Occupancy: 10
; WaveLimiterHint : 1
; COMPUTE_PGM_RSRC2:SCRATCH_EN: 0
; COMPUTE_PGM_RSRC2:USER_SGPR: 15
; COMPUTE_PGM_RSRC2:TRAP_HANDLER: 0
; COMPUTE_PGM_RSRC2:TGID_X_EN: 1
; COMPUTE_PGM_RSRC2:TGID_Y_EN: 0
; COMPUTE_PGM_RSRC2:TGID_Z_EN: 0
; COMPUTE_PGM_RSRC2:TIDIG_COMP_CNT: 0
	.text
	.p2alignl 7, 3214868480
	.fill 96, 4, 3214868480
	.type	__hip_cuid_1ed97c8185af7ef6,@object ; @__hip_cuid_1ed97c8185af7ef6
	.section	.bss,"aw",@nobits
	.globl	__hip_cuid_1ed97c8185af7ef6
__hip_cuid_1ed97c8185af7ef6:
	.byte	0                               ; 0x0
	.size	__hip_cuid_1ed97c8185af7ef6, 1

	.ident	"AMD clang version 19.0.0git (https://github.com/RadeonOpenCompute/llvm-project roc-6.4.0 25133 c7fe45cf4b819c5991fe208aaa96edf142730f1d)"
	.section	".note.GNU-stack","",@progbits
	.addrsig
	.addrsig_sym __hip_cuid_1ed97c8185af7ef6
	.amdgpu_metadata
---
amdhsa.kernels:
  - .args:
      - .actual_access:  read_only
        .address_space:  global
        .offset:         0
        .size:           8
        .value_kind:     global_buffer
      - .address_space:  global
        .offset:         8
        .size:           8
        .value_kind:     global_buffer
      - .offset:         16
        .size:           8
        .value_kind:     by_value
      - .actual_access:  read_only
        .address_space:  global
        .offset:         24
        .size:           8
        .value_kind:     global_buffer
      - .actual_access:  read_only
        .address_space:  global
        .offset:         32
        .size:           8
        .value_kind:     global_buffer
      - .actual_access:  read_only
        .address_space:  global
        .offset:         40
        .size:           8
        .value_kind:     global_buffer
      - .offset:         48
        .size:           8
        .value_kind:     by_value
      - .actual_access:  read_only
        .address_space:  global
        .offset:         56
        .size:           8
        .value_kind:     global_buffer
      - .actual_access:  read_only
        .address_space:  global
        .offset:         64
        .size:           8
        .value_kind:     global_buffer
      - .offset:         72
        .size:           4
        .value_kind:     by_value
      - .actual_access:  read_only
        .address_space:  global
        .offset:         80
        .size:           8
        .value_kind:     global_buffer
      - .actual_access:  read_only
        .address_space:  global
        .offset:         88
        .size:           8
        .value_kind:     global_buffer
      - .actual_access:  read_only
        .address_space:  global
        .offset:         96
        .size:           8
        .value_kind:     global_buffer
      - .actual_access:  write_only
        .address_space:  global
        .offset:         104
        .size:           8
        .value_kind:     global_buffer
    .group_segment_fixed_size: 0
    .kernarg_segment_align: 8
    .kernarg_segment_size: 112
    .language:       OpenCL C
    .language_version:
      - 2
      - 0
    .max_flat_workgroup_size: 160
    .name:           fft_rtc_back_len60_factors_6_10_wgs_160_tpt_10_dp_op_CI_CI_sbcc_twdbase8_3step_dirReg_intrinsicRead
    .private_segment_fixed_size: 0
    .sgpr_count:     56
    .sgpr_spill_count: 0
    .symbol:         fft_rtc_back_len60_factors_6_10_wgs_160_tpt_10_dp_op_CI_CI_sbcc_twdbase8_3step_dirReg_intrinsicRead.kd
    .uniform_work_group_size: 1
    .uses_dynamic_stack: false
    .vgpr_count:     134
    .vgpr_spill_count: 0
    .wavefront_size: 32
    .workgroup_processor_mode: 1
amdhsa.target:   amdgcn-amd-amdhsa--gfx1100
amdhsa.version:
  - 1
  - 2
...

	.end_amdgpu_metadata
